;; amdgpu-corpus repo=ROCm/rocFFT kind=compiled arch=gfx1030 opt=O3
	.text
	.amdgcn_target "amdgcn-amd-amdhsa--gfx1030"
	.amdhsa_code_object_version 6
	.protected	bluestein_single_fwd_len280_dim1_sp_op_CI_CI ; -- Begin function bluestein_single_fwd_len280_dim1_sp_op_CI_CI
	.globl	bluestein_single_fwd_len280_dim1_sp_op_CI_CI
	.p2align	8
	.type	bluestein_single_fwd_len280_dim1_sp_op_CI_CI,@function
bluestein_single_fwd_len280_dim1_sp_op_CI_CI: ; @bluestein_single_fwd_len280_dim1_sp_op_CI_CI
; %bb.0:
	s_load_dwordx4 s[0:3], s[4:5], 0x28
	v_mul_u32_u24_e32 v1, 0x493, v0
	v_mov_b32_e32 v37, 0
	v_lshrrev_b32_e32 v1, 16, v1
	v_add_nc_u32_e32 v36, s6, v1
	s_waitcnt lgkmcnt(0)
	v_cmp_gt_u64_e32 vcc_lo, s[0:1], v[36:37]
	s_and_saveexec_b32 s0, vcc_lo
	s_cbranch_execz .LBB0_23
; %bb.1:
	s_clause 0x1
	s_load_dwordx2 s[14:15], s[4:5], 0x0
	s_load_dwordx2 s[12:13], s[4:5], 0x38
	v_mul_lo_u16 v1, v1, 56
	v_sub_nc_u16 v0, v0, v1
	v_and_b32_e32 v38, 0xffff, v0
	v_cmp_gt_u16_e32 vcc_lo, 35, v0
	v_lshlrev_b32_e32 v37, 3, v38
	s_and_saveexec_b32 s1, vcc_lo
	s_cbranch_execz .LBB0_3
; %bb.2:
	s_load_dwordx2 s[6:7], s[4:5], 0x18
	s_waitcnt lgkmcnt(0)
	s_load_dwordx4 s[8:11], s[6:7], 0x0
	s_waitcnt lgkmcnt(0)
	v_mad_u64_u32 v[0:1], null, s10, v36, 0
	v_mad_u64_u32 v[2:3], null, s8, v38, 0
	s_mul_i32 s6, s9, 0x118
	s_mul_hi_u32 s7, s8, 0x118
	s_add_i32 s7, s7, s6
	v_mad_u64_u32 v[4:5], null, s11, v36, v[1:2]
	v_mad_u64_u32 v[5:6], null, s9, v38, v[3:4]
	v_mov_b32_e32 v1, v4
	v_lshlrev_b64 v[0:1], 3, v[0:1]
	v_mov_b32_e32 v3, v5
	s_clause 0x5
	global_load_dwordx2 v[4:5], v37, s[14:15]
	global_load_dwordx2 v[6:7], v37, s[14:15] offset:280
	global_load_dwordx2 v[8:9], v37, s[14:15] offset:560
	;; [unrolled: 1-line block ×5, first 2 shown]
	v_lshlrev_b64 v[2:3], 3, v[2:3]
	v_add_co_u32 v0, s0, s2, v0
	v_add_co_ci_u32_e64 v1, s0, s3, v1, s0
	s_mul_i32 s2, s8, 0x118
	v_add_co_u32 v0, s0, v0, v2
	v_add_co_ci_u32_e64 v1, s0, v1, v3, s0
	v_add_co_u32 v2, s0, v0, s2
	v_add_co_ci_u32_e64 v3, s0, s7, v1, s0
	global_load_dwordx2 v[0:1], v[0:1], off
	v_add_co_u32 v16, s0, v2, s2
	v_add_co_ci_u32_e64 v17, s0, s7, v3, s0
	global_load_dwordx2 v[2:3], v[2:3], off
	v_add_co_u32 v18, s0, v16, s2
	v_add_co_ci_u32_e64 v19, s0, s7, v17, s0
	v_add_co_u32 v20, s0, v18, s2
	v_add_co_ci_u32_e64 v21, s0, s7, v19, s0
	s_clause 0x1
	global_load_dwordx2 v[16:17], v[16:17], off
	global_load_dwordx2 v[18:19], v[18:19], off
	v_add_co_u32 v22, s0, v20, s2
	v_add_co_ci_u32_e64 v23, s0, s7, v21, s0
	global_load_dwordx2 v[20:21], v[20:21], off
	v_add_co_u32 v24, s0, v22, s2
	v_add_co_ci_u32_e64 v25, s0, s7, v23, s0
	global_load_dwordx2 v[22:23], v[22:23], off
	v_add_co_u32 v26, s0, v24, s2
	v_add_co_ci_u32_e64 v27, s0, s7, v25, s0
	global_load_dwordx2 v[24:25], v[24:25], off
	s_clause 0x1
	global_load_dwordx2 v[28:29], v37, s[14:15] offset:1680
	global_load_dwordx2 v[30:31], v37, s[14:15] offset:1960
	global_load_dwordx2 v[26:27], v[26:27], off
	s_waitcnt vmcnt(9)
	v_mul_f32_e32 v32, v1, v5
	v_mul_f32_e32 v33, v0, v5
	v_fmac_f32_e32 v32, v0, v4
	s_waitcnt vmcnt(8)
	v_mul_f32_e32 v0, v3, v7
	v_mul_f32_e32 v7, v2, v7
	v_fma_f32 v33, v1, v4, -v33
	v_fmac_f32_e32 v0, v2, v6
	v_fma_f32 v1, v3, v6, -v7
	s_waitcnt vmcnt(7)
	v_mul_f32_e32 v4, v16, v9
	v_mul_f32_e32 v5, v17, v9
	s_waitcnt vmcnt(6)
	v_mul_f32_e32 v2, v19, v11
	v_mul_f32_e32 v3, v18, v11
	v_fma_f32 v6, v17, v8, -v4
	s_waitcnt vmcnt(5)
	v_mul_f32_e32 v4, v20, v13
	v_mul_f32_e32 v7, v21, v13
	v_fmac_f32_e32 v5, v16, v8
	v_fmac_f32_e32 v2, v18, v10
	v_fma_f32 v3, v19, v10, -v3
	s_waitcnt vmcnt(4)
	v_mul_f32_e32 v9, v23, v15
	v_fma_f32 v8, v21, v12, -v4
	v_mul_f32_e32 v4, v22, v15
	v_fmac_f32_e32 v7, v20, v12
	s_waitcnt vmcnt(2)
	v_mul_f32_e32 v11, v25, v29
	v_mul_f32_e32 v12, v24, v29
	s_waitcnt vmcnt(0)
	v_mul_f32_e32 v13, v27, v31
	v_mul_f32_e32 v15, v26, v31
	v_fmac_f32_e32 v9, v22, v14
	v_fma_f32 v10, v23, v14, -v4
	v_fmac_f32_e32 v11, v24, v28
	v_fma_f32 v12, v25, v28, -v12
	;; [unrolled: 2-line block ×3, first 2 shown]
	ds_write2_b64 v37, v[32:33], v[0:1] offset1:35
	ds_write2_b64 v37, v[5:6], v[2:3] offset0:70 offset1:105
	ds_write2_b64 v37, v[7:8], v[9:10] offset0:140 offset1:175
	;; [unrolled: 1-line block ×3, first 2 shown]
.LBB0_3:
	s_or_b32 exec_lo, exec_lo, s1
	s_waitcnt lgkmcnt(0)
	s_barrier
	buffer_gl0_inv
                                        ; implicit-def: $vgpr10
                                        ; implicit-def: $vgpr14
                                        ; implicit-def: $vgpr2
                                        ; implicit-def: $vgpr6
	s_and_saveexec_b32 s0, vcc_lo
	s_cbranch_execz .LBB0_5
; %bb.4:
	ds_read2_b64 v[4:7], v37 offset1:35
	ds_read2_b64 v[0:3], v37 offset0:70 offset1:105
	ds_read2_b64 v[12:15], v37 offset0:140 offset1:175
	;; [unrolled: 1-line block ×3, first 2 shown]
.LBB0_5:
	s_or_b32 exec_lo, exec_lo, s0
	s_waitcnt lgkmcnt(1)
	v_sub_f32_e32 v12, v4, v12
	s_waitcnt lgkmcnt(0)
	v_sub_f32_e32 v9, v1, v9
	v_sub_f32_e32 v14, v6, v14
	v_sub_f32_e32 v11, v3, v11
	v_sub_f32_e32 v13, v5, v13
	v_sub_f32_e32 v8, v0, v8
	v_sub_f32_e32 v15, v7, v15
	v_fma_f32 v1, v1, 2.0, -v9
	v_sub_f32_e32 v10, v2, v10
	v_sub_f32_e32 v9, v12, v9
	v_fma_f32 v3, v3, 2.0, -v11
	v_sub_f32_e32 v11, v14, v11
	v_fma_f32 v4, v4, 2.0, -v12
	v_fma_f32 v5, v5, 2.0, -v13
	;; [unrolled: 1-line block ×6, first 2 shown]
	v_add_f32_e32 v8, v8, v13
	v_fma_f32 v20, v12, 2.0, -v9
	v_add_f32_e32 v10, v10, v15
	v_fma_f32 v14, v14, 2.0, -v11
	v_sub_f32_e32 v0, v4, v0
	v_sub_f32_e32 v1, v5, v1
	;; [unrolled: 1-line block ×4, first 2 shown]
	v_fma_f32 v24, v13, 2.0, -v8
	v_fma_f32 v13, v15, 2.0, -v10
	v_fmamk_f32 v18, v14, 0xbf3504f3, v20
	s_load_dwordx2 s[2:3], s[4:5], 0x8
	v_fma_f32 v4, v4, 2.0, -v0
	v_fma_f32 v5, v5, 2.0, -v1
	;; [unrolled: 1-line block ×4, first 2 shown]
	v_fmamk_f32 v19, v13, 0xbf3504f3, v24
	v_fmac_f32_e32 v18, 0xbf3504f3, v13
	v_fmamk_f32 v22, v11, 0x3f3504f3, v9
	v_fmamk_f32 v23, v10, 0x3f3504f3, v8
	v_sub_f32_e32 v16, v4, v6
	v_sub_f32_e32 v17, v5, v7
	v_fmac_f32_e32 v19, 0x3f3504f3, v14
	v_fma_f32 v14, v20, 2.0, -v18
	v_sub_f32_e32 v20, v0, v3
	v_add_f32_e32 v21, v2, v1
	v_fmac_f32_e32 v22, 0xbf3504f3, v10
	v_fmac_f32_e32 v23, 0x3f3504f3, v11
	v_fma_f32 v12, v4, 2.0, -v16
	v_fma_f32 v13, v5, 2.0, -v17
	;; [unrolled: 1-line block ×7, first 2 shown]
	v_lshlrev_b16 v41, 3, v38
	s_waitcnt lgkmcnt(0)
	s_barrier
	buffer_gl0_inv
	s_and_saveexec_b32 s0, vcc_lo
	s_cbranch_execz .LBB0_7
; %bb.6:
	v_mov_b32_e32 v0, 3
	v_lshlrev_b32_sdwa v0, v0, v41 dst_sel:DWORD dst_unused:UNUSED_PAD src0_sel:DWORD src1_sel:WORD_0
	ds_write_b128 v0, v[12:15]
	ds_write_b128 v0, v[24:27] offset:16
	ds_write_b128 v0, v[16:19] offset:32
	;; [unrolled: 1-line block ×3, first 2 shown]
.LBB0_7:
	s_or_b32 exec_lo, exec_lo, s0
	s_load_dwordx2 s[4:5], s[4:5], 0x20
	v_cmp_gt_u16_e64 s0, 40, v38
	s_waitcnt lgkmcnt(0)
	s_barrier
	buffer_gl0_inv
	s_and_saveexec_b32 s1, s0
	s_cbranch_execz .LBB0_9
; %bb.8:
	ds_read2_b64 v[12:15], v37 offset1:40
	ds_read2_b64 v[24:27], v37 offset0:80 offset1:120
	ds_read2_b64 v[16:19], v37 offset0:160 offset1:200
	ds_read_b64 v[20:21], v37 offset:1920
.LBB0_9:
	s_or_b32 exec_lo, exec_lo, s1
	v_and_b32_e32 v39, 7, v38
	v_mul_u32_u24_e32 v0, 6, v39
	v_lshlrev_b32_e32 v8, 3, v0
	s_clause 0x2
	global_load_dwordx4 v[4:7], v8, s[2:3]
	global_load_dwordx4 v[0:3], v8, s[2:3] offset:16
	global_load_dwordx4 v[8:11], v8, s[2:3] offset:32
	s_waitcnt vmcnt(0) lgkmcnt(0)
	s_barrier
	buffer_gl0_inv
	v_mul_f32_e32 v28, v15, v5
	v_mul_f32_e32 v29, v14, v5
	;; [unrolled: 1-line block ×12, first 2 shown]
	v_fma_f32 v14, v14, v4, -v28
	v_fmac_f32_e32 v29, v15, v4
	v_fma_f32 v15, v24, v6, -v30
	v_fmac_f32_e32 v31, v25, v6
	;; [unrolled: 2-line block ×3, first 2 shown]
	v_fmac_f32_e32 v35, v17, v2
	v_fma_f32 v17, v18, v8, -v40
	v_fmac_f32_e32 v42, v19, v8
	v_fma_f32 v24, v26, v0, -v32
	v_fmac_f32_e32 v33, v27, v0
	v_fma_f32 v16, v16, v2, -v34
	v_add_f32_e32 v18, v14, v20
	v_add_f32_e32 v19, v29, v44
	;; [unrolled: 1-line block ×4, first 2 shown]
	v_sub_f32_e32 v20, v14, v20
	v_sub_f32_e32 v21, v29, v44
	;; [unrolled: 1-line block ×4, first 2 shown]
	v_add_f32_e32 v28, v24, v16
	v_add_f32_e32 v29, v33, v35
	v_sub_f32_e32 v16, v16, v24
	v_sub_f32_e32 v24, v35, v33
	v_add_f32_e32 v30, v25, v18
	v_add_f32_e32 v31, v26, v19
	v_sub_f32_e32 v14, v25, v18
	v_sub_f32_e32 v15, v26, v19
	;; [unrolled: 1-line block ×6, first 2 shown]
	v_add_f32_e32 v26, v16, v17
	v_add_f32_e32 v33, v24, v27
	v_sub_f32_e32 v34, v16, v17
	v_sub_f32_e32 v35, v24, v27
	;; [unrolled: 1-line block ×5, first 2 shown]
	v_add_f32_e32 v27, v28, v30
	v_add_f32_e32 v43, v29, v31
	v_sub_f32_e32 v42, v21, v24
	v_add_f32_e32 v30, v26, v20
	v_add_f32_e32 v31, v33, v21
	v_mul_f32_e32 v18, 0x3f4a47b2, v18
	v_mul_f32_e32 v20, 0x3f4a47b2, v32
	;; [unrolled: 1-line block ×6, first 2 shown]
	v_add_f32_e32 v12, v12, v27
	v_add_f32_e32 v13, v13, v43
	v_fmamk_f32 v21, v19, 0x3d64c772, v18
	v_fmamk_f32 v26, v25, 0x3d64c772, v20
	v_fma_f32 v35, 0xbf3bfb3b, v14, -v18
	v_fma_f32 v20, 0xbf3bfb3b, v15, -v20
	v_fmamk_f32 v16, v40, 0x3eae86e6, v32
	v_fmamk_f32 v17, v42, 0x3eae86e6, v28
	v_fma_f32 v24, 0xbeae86e6, v40, -v34
	v_fma_f32 v18, 0xbeae86e6, v42, -v33
	v_fmamk_f32 v29, v27, 0xbf955555, v12
	v_fmamk_f32 v45, v43, 0xbf955555, v13
	v_fmac_f32_e32 v16, 0x3ee1c552, v30
	v_fmac_f32_e32 v17, 0x3ee1c552, v31
	;; [unrolled: 1-line block ×4, first 2 shown]
	v_add_f32_e32 v35, v35, v29
	v_add_f32_e32 v43, v20, v45
	;; [unrolled: 1-line block ×4, first 2 shown]
	v_lshrrev_b32_e32 v40, 3, v38
	v_sub_f32_e32 v26, v35, v18
	v_add_f32_e32 v27, v24, v43
	v_sub_f32_e32 v20, v42, v17
	v_add_f32_e32 v21, v16, v44
	s_and_saveexec_b32 s1, s0
	s_cbranch_execz .LBB0_11
; %bb.10:
	v_mul_f32_e32 v25, 0x3d64c772, v25
	v_mul_f32_e32 v15, 0x3f3bfb3b, v15
	;; [unrolled: 1-line block ×4, first 2 shown]
	v_sub_f32_e32 v28, v33, v28
	v_mul_f32_e32 v19, 0x3d64c772, v19
	v_sub_f32_e32 v15, v15, v25
	v_sub_f32_e32 v25, v34, v32
	v_mul_f32_e32 v14, 0x3f3bfb3b, v14
	v_add_f32_e32 v18, v18, v35
	v_add_f32_e32 v25, v30, v25
	;; [unrolled: 1-line block ×3, first 2 shown]
	v_mul_u32_u24_e32 v28, 56, v40
	v_sub_f32_e32 v14, v14, v19
	v_add_f32_e32 v19, v15, v45
	v_or_b32_e32 v31, v28, v39
	v_add_f32_e32 v14, v14, v29
	v_sub_f32_e32 v15, v19, v25
	v_add_f32_e32 v29, v25, v19
	v_sub_f32_e32 v19, v43, v24
	v_sub_f32_e32 v25, v44, v16
	v_add_f32_e32 v24, v17, v42
	v_lshlrev_b32_e32 v16, 3, v31
	v_sub_f32_e32 v28, v14, v30
	v_add_f32_e32 v14, v30, v14
	ds_write2_b64 v16, v[12:13], v[24:25] offset1:8
	ds_write2_b64 v16, v[18:19], v[28:29] offset0:16 offset1:24
	ds_write2_b64 v16, v[14:15], v[26:27] offset0:32 offset1:40
	ds_write_b64 v16, v[20:21] offset:384
.LBB0_11:
	s_or_b32 exec_lo, exec_lo, s1
	v_lshlrev_b32_e32 v12, 5, v38
	s_load_dwordx4 s[4:7], s[4:5], 0x0
	s_waitcnt lgkmcnt(0)
	s_barrier
	buffer_gl0_inv
	s_clause 0x1
	global_load_dwordx4 v[16:19], v12, s[2:3] offset:384
	global_load_dwordx4 v[12:15], v12, s[2:3] offset:400
	ds_read2_b64 v[28:31], v37 offset1:56
	ds_read2_b64 v[32:35], v37 offset0:112 offset1:168
	ds_read_b64 v[24:25], v37 offset:1792
	s_waitcnt vmcnt(1) lgkmcnt(2)
	v_mul_f32_e32 v42, v31, v17
	v_mul_f32_e32 v43, v30, v17
	s_waitcnt lgkmcnt(1)
	v_mul_f32_e32 v44, v33, v19
	v_mul_f32_e32 v45, v32, v19
	s_waitcnt vmcnt(0)
	v_mul_f32_e32 v46, v35, v13
	v_mul_f32_e32 v47, v34, v13
	s_waitcnt lgkmcnt(0)
	v_mul_f32_e32 v48, v25, v15
	v_mul_f32_e32 v49, v24, v15
	v_fma_f32 v30, v30, v16, -v42
	v_fmac_f32_e32 v43, v31, v16
	v_fma_f32 v31, v32, v18, -v44
	v_fmac_f32_e32 v45, v33, v18
	;; [unrolled: 2-line block ×3, first 2 shown]
	v_fmac_f32_e32 v47, v35, v12
	v_fma_f32 v33, v24, v14, -v48
	v_add_f32_e32 v24, v28, v30
	v_add_f32_e32 v25, v31, v32
	v_sub_f32_e32 v34, v30, v31
	v_add_f32_e32 v51, v29, v43
	v_sub_f32_e32 v35, v33, v32
	v_add_f32_e32 v46, v30, v33
	v_add_f32_e32 v52, v45, v47
	;; [unrolled: 1-line block ×3, first 2 shown]
	v_sub_f32_e32 v42, v43, v49
	v_sub_f32_e32 v44, v45, v47
	;; [unrolled: 1-line block ×5, first 2 shown]
	v_add_f32_e32 v59, v24, v31
	v_fma_f32 v24, -0.5, v25, v28
	v_add_f32_e32 v60, v34, v35
	v_fma_f32 v30, -0.5, v46, v28
	;; [unrolled: 2-line block ×3, first 2 shown]
	v_fma_f32 v31, -0.5, v57, v29
	v_sub_f32_e32 v50, v32, v33
	v_sub_f32_e32 v55, v43, v45
	;; [unrolled: 1-line block ×5, first 2 shown]
	v_fmamk_f32 v34, v42, 0x3f737871, v24
	v_fmac_f32_e32 v24, 0xbf737871, v42
	v_fmamk_f32 v28, v44, 0xbf737871, v30
	v_fmac_f32_e32 v30, 0x3f737871, v44
	v_add_f32_e32 v47, v35, v47
	v_fmamk_f32 v35, v53, 0xbf737871, v25
	v_fmac_f32_e32 v25, 0x3f737871, v53
	v_fmamk_f32 v29, v54, 0x3f737871, v31
	v_fmac_f32_e32 v31, 0xbf737871, v54
	v_add_f32_e32 v46, v48, v50
	v_add_f32_e32 v45, v55, v56
	;; [unrolled: 1-line block ×4, first 2 shown]
	v_fmac_f32_e32 v34, 0x3f167918, v44
	v_fmac_f32_e32 v24, 0xbf167918, v44
	v_fmac_f32_e32 v28, 0x3f167918, v42
	v_fmac_f32_e32 v30, 0xbf167918, v42
	v_fmac_f32_e32 v35, 0xbf167918, v54
	v_fmac_f32_e32 v25, 0x3f167918, v54
	v_fmac_f32_e32 v29, 0xbf167918, v53
	v_fmac_f32_e32 v31, 0x3f167918, v53
	v_add_f32_e32 v32, v32, v33
	v_add_f32_e32 v33, v47, v49
	v_fmac_f32_e32 v34, 0x3e9e377a, v60
	v_fmac_f32_e32 v24, 0x3e9e377a, v60
	;; [unrolled: 1-line block ×8, first 2 shown]
	ds_write2_b64 v37, v[32:33], v[34:35] offset1:56
	ds_write2_b64 v37, v[28:29], v[30:31] offset0:112 offset1:168
	ds_write_b64 v37, v[24:25] offset:1792
	s_waitcnt lgkmcnt(0)
	s_barrier
	buffer_gl0_inv
	s_and_saveexec_b32 s2, vcc_lo
	s_cbranch_execz .LBB0_13
; %bb.12:
	v_add_co_u32 v44, s1, s14, v37
	v_add_co_ci_u32_e64 v45, null, s15, 0, s1
	v_add_co_u32 v42, s1, 0x800, v44
	v_add_co_ci_u32_e64 v43, s1, 0, v45, s1
	v_add_co_u32 v44, s1, 0x8c0, v44
	v_add_co_ci_u32_e64 v45, s1, 0, v45, s1
	s_clause 0x7
	global_load_dwordx2 v[42:43], v[42:43], off offset:192
	global_load_dwordx2 v[54:55], v[44:45], off offset:1960
	;; [unrolled: 1-line block ×8, first 2 shown]
	ds_read_b64 v[44:45], v37
	ds_read_b64 v[68:69], v37 offset:1960
	s_waitcnt vmcnt(6) lgkmcnt(0)
	v_mul_f32_e32 v70, v69, v55
	v_mul_f32_e32 v71, v68, v55
	v_mul_f32_e32 v46, v45, v43
	v_mul_f32_e32 v47, v44, v43
	v_fma_f32 v70, v68, v54, -v70
	v_fmac_f32_e32 v71, v69, v54
	v_fma_f32 v46, v44, v42, -v46
	v_fmac_f32_e32 v47, v45, v42
	ds_write_b64 v37, v[46:47]
	ds_read2_b64 v[42:45], v37 offset0:35 offset1:70
	ds_read2_b64 v[46:49], v37 offset0:105 offset1:140
	;; [unrolled: 1-line block ×3, first 2 shown]
	s_waitcnt vmcnt(5) lgkmcnt(2)
	v_mul_f32_e32 v55, v43, v57
	v_mul_f32_e32 v68, v42, v57
	s_waitcnt vmcnt(4)
	v_mul_f32_e32 v72, v45, v59
	v_mul_f32_e32 v57, v44, v59
	s_waitcnt vmcnt(3) lgkmcnt(1)
	v_mul_f32_e32 v73, v47, v61
	v_mul_f32_e32 v59, v46, v61
	s_waitcnt vmcnt(2)
	v_mul_f32_e32 v74, v49, v63
	v_mul_f32_e32 v61, v48, v63
	;; [unrolled: 6-line block ×3, first 2 shown]
	v_fma_f32 v67, v42, v56, -v55
	v_fmac_f32_e32 v68, v43, v56
	v_fma_f32 v56, v44, v58, -v72
	v_fmac_f32_e32 v57, v45, v58
	;; [unrolled: 2-line block ×6, first 2 shown]
	ds_write2_b64 v37, v[67:68], v[56:57] offset0:35 offset1:70
	ds_write2_b64 v37, v[58:59], v[60:61] offset0:105 offset1:140
	;; [unrolled: 1-line block ×3, first 2 shown]
	ds_write_b64 v37, v[70:71] offset:1960
.LBB0_13:
	s_or_b32 exec_lo, exec_lo, s2
	s_waitcnt lgkmcnt(0)
	s_barrier
	buffer_gl0_inv
	s_and_saveexec_b32 s1, vcc_lo
	s_cbranch_execz .LBB0_15
; %bb.14:
	ds_read2_b64 v[32:35], v37 offset1:35
	ds_read2_b64 v[28:31], v37 offset0:70 offset1:105
	ds_read2_b64 v[24:27], v37 offset0:140 offset1:175
	;; [unrolled: 1-line block ×3, first 2 shown]
.LBB0_15:
	s_or_b32 exec_lo, exec_lo, s1
	s_waitcnt lgkmcnt(1)
	v_sub_f32_e32 v24, v32, v24
	v_sub_f32_e32 v25, v33, v25
	s_waitcnt lgkmcnt(0)
	v_sub_f32_e32 v20, v28, v20
	v_sub_f32_e32 v21, v29, v21
	;; [unrolled: 1-line block ×3, first 2 shown]
	v_fma_f32 v32, v32, 2.0, -v24
	v_fma_f32 v33, v33, 2.0, -v25
	v_sub_f32_e32 v27, v35, v27
	v_fma_f32 v28, v28, 2.0, -v20
	v_fma_f32 v29, v29, 2.0, -v21
	v_sub_f32_e32 v22, v30, v22
	v_sub_f32_e32 v23, v31, v23
	v_fma_f32 v34, v34, 2.0, -v26
	v_fma_f32 v35, v35, 2.0, -v27
	v_sub_f32_e32 v28, v32, v28
	v_sub_f32_e32 v29, v33, v29
	v_fma_f32 v30, v30, 2.0, -v22
	v_add_f32_e32 v42, v21, v24
	v_fma_f32 v21, v31, 2.0, -v23
	v_add_f32_e32 v23, v23, v26
	v_fma_f32 v31, v32, 2.0, -v28
	v_fma_f32 v32, v33, 2.0, -v29
	v_sub_f32_e32 v43, v25, v20
	v_fma_f32 v33, v24, 2.0, -v42
	v_sub_f32_e32 v30, v34, v30
	v_sub_f32_e32 v44, v35, v21
	;; [unrolled: 1-line block ×3, first 2 shown]
	v_fma_f32 v22, v26, 2.0, -v23
	v_fma_f32 v46, v25, 2.0, -v43
	;; [unrolled: 1-line block ×5, first 2 shown]
	v_fmamk_f32 v26, v22, 0xbf3504f3, v33
	v_fmamk_f32 v35, v45, 0x3f3504f3, v43
	v_sub_f32_e32 v24, v31, v20
	v_sub_f32_e32 v25, v32, v21
	v_fmamk_f32 v27, v34, 0xbf3504f3, v46
	v_fmac_f32_e32 v26, 0x3f3504f3, v34
	v_fmamk_f32 v34, v23, 0x3f3504f3, v42
	v_fmac_f32_e32 v35, 0xbf3504f3, v23
	v_fma_f32 v21, v32, 2.0, -v25
	v_fmac_f32_e32 v27, 0xbf3504f3, v22
	v_fma_f32 v22, v33, 2.0, -v26
	v_add_f32_e32 v32, v44, v28
	v_sub_f32_e32 v33, v29, v30
	v_fmac_f32_e32 v34, 0x3f3504f3, v45
	v_fma_f32 v20, v31, 2.0, -v24
	v_fma_f32 v23, v46, 2.0, -v27
	;; [unrolled: 1-line block ×6, first 2 shown]
	s_barrier
	buffer_gl0_inv
	s_and_saveexec_b32 s1, vcc_lo
	s_cbranch_execz .LBB0_17
; %bb.16:
	v_mov_b32_e32 v42, 3
	v_lshlrev_b32_sdwa v41, v42, v41 dst_sel:DWORD dst_unused:UNUSED_PAD src0_sel:DWORD src1_sel:WORD_0
	ds_write_b128 v41, v[20:23]
	ds_write_b128 v41, v[28:31] offset:16
	ds_write_b128 v41, v[24:27] offset:32
	;; [unrolled: 1-line block ×3, first 2 shown]
.LBB0_17:
	s_or_b32 exec_lo, exec_lo, s1
	s_waitcnt lgkmcnt(0)
	s_barrier
	buffer_gl0_inv
	s_and_saveexec_b32 s1, s0
	s_cbranch_execz .LBB0_19
; %bb.18:
	ds_read2_b64 v[20:23], v37 offset1:40
	ds_read2_b64 v[28:31], v37 offset0:80 offset1:120
	ds_read2_b64 v[24:27], v37 offset0:160 offset1:200
	ds_read_b64 v[32:33], v37 offset:1920
.LBB0_19:
	s_or_b32 exec_lo, exec_lo, s1
	s_waitcnt lgkmcnt(0)
	s_barrier
	buffer_gl0_inv
	s_and_saveexec_b32 s1, s0
	s_cbranch_execz .LBB0_21
; %bb.20:
	v_mul_f32_e32 v41, v5, v23
	v_mul_f32_e32 v42, v11, v33
	;; [unrolled: 1-line block ×5, first 2 shown]
	v_fmac_f32_e32 v41, v4, v22
	v_mul_f32_e32 v22, v9, v27
	v_mul_f32_e32 v35, v1, v31
	;; [unrolled: 1-line block ×3, first 2 shown]
	v_fmac_f32_e32 v42, v10, v32
	v_fmac_f32_e32 v43, v6, v28
	v_mul_f32_e32 v9, v9, v26
	v_mul_f32_e32 v7, v7, v28
	v_fmac_f32_e32 v22, v8, v26
	v_fmac_f32_e32 v34, v2, v24
	v_fmac_f32_e32 v35, v0, v30
	v_fma_f32 v10, v10, v33, -v11
	v_fma_f32 v4, v4, v23, -v5
	v_mul_f32_e32 v1, v1, v30
	v_mul_f32_e32 v3, v3, v24
	v_fma_f32 v5, v8, v27, -v9
	v_fma_f32 v6, v6, v29, -v7
	v_sub_f32_e32 v9, v43, v22
	v_add_f32_e32 v30, v42, v41
	v_add_f32_e32 v22, v22, v43
	v_sub_f32_e32 v32, v34, v35
	v_fma_f32 v0, v0, v31, -v1
	v_fma_f32 v2, v2, v25, -v3
	v_add_f32_e32 v7, v10, v4
	v_add_f32_e32 v8, v5, v6
	v_sub_f32_e32 v11, v41, v42
	v_add_f32_e32 v31, v34, v35
	v_add_f32_e32 v33, v22, v30
	v_add_f32_e32 v1, v2, v0
	v_add_f32_e32 v3, v8, v7
	v_sub_f32_e32 v23, v32, v9
	v_sub_f32_e32 v25, v11, v32
	v_add_f32_e32 v26, v32, v9
	v_sub_f32_e32 v32, v30, v31
	v_sub_f32_e32 v5, v6, v5
	;; [unrolled: 1-line block ×3, first 2 shown]
	v_add_f32_e32 v31, v31, v33
	v_sub_f32_e32 v9, v9, v11
	v_add_f32_e32 v3, v1, v3
	v_mul_f32_e32 v23, 0x3f08b237, v23
	v_sub_f32_e32 v2, v2, v0
	v_sub_f32_e32 v4, v4, v10
	v_add_f32_e32 v0, v20, v31
	v_mul_f32_e32 v20, 0xbf5ff5aa, v9
	v_sub_f32_e32 v24, v7, v1
	v_sub_f32_e32 v27, v1, v8
	v_add_f32_e32 v1, v21, v3
	v_fmamk_f32 v21, v25, 0xbeae86e6, v23
	v_add_f32_e32 v26, v26, v11
	v_mul_f32_e32 v32, 0x3f4a47b2, v32
	v_sub_f32_e32 v10, v2, v5
	v_sub_f32_e32 v11, v4, v2
	v_add_f32_e32 v2, v2, v5
	v_fma_f32 v20, 0x3eae86e6, v25, -v20
	v_sub_f32_e32 v25, v5, v4
	v_mul_f32_e32 v33, 0x3d64c772, v6
	v_mul_f32_e32 v10, 0x3f08b237, v10
	v_fmamk_f32 v6, v6, 0x3d64c772, v32
	v_sub_f32_e32 v7, v8, v7
	v_fmamk_f32 v8, v31, 0xbf955555, v0
	v_sub_f32_e32 v22, v22, v30
	v_add_f32_e32 v2, v2, v4
	v_mul_f32_e32 v4, 0xbf5ff5aa, v25
	v_mul_f32_e32 v24, 0x3f4a47b2, v24
	v_fmamk_f32 v31, v11, 0xbeae86e6, v10
	v_fma_f32 v30, 0xbf3bfb3b, v22, -v32
	v_add_f32_e32 v32, v6, v8
	v_fma_f32 v6, 0x3eae86e6, v11, -v4
	v_fma_f32 v9, 0xbf5ff5aa, v9, -v23
	;; [unrolled: 1-line block ×3, first 2 shown]
	v_fmamk_f32 v28, v27, 0x3d64c772, v24
	v_mul_f32_e32 v27, 0x3d64c772, v27
	v_fmamk_f32 v29, v3, 0xbf955555, v1
	v_fma_f32 v24, 0xbf3bfb3b, v7, -v24
	v_fmac_f32_e32 v31, 0xbee1c552, v2
	v_fmac_f32_e32 v6, 0xbee1c552, v2
	;; [unrolled: 1-line block ×3, first 2 shown]
	v_mul_u32_u24_e32 v2, 56, v40
	v_fma_f32 v4, 0x3f3bfb3b, v7, -v27
	v_fma_f32 v7, 0x3f3bfb3b, v22, -v33
	v_fmac_f32_e32 v21, 0xbee1c552, v26
	v_add_f32_e32 v28, v28, v29
	v_fmac_f32_e32 v20, 0xbee1c552, v26
	v_add_f32_e32 v24, v24, v29
	v_or_b32_e32 v2, v2, v39
	v_add_f32_e32 v30, v30, v8
	v_add_f32_e32 v10, v4, v29
	v_fmac_f32_e32 v9, 0xbee1c552, v26
	v_add_f32_e32 v22, v7, v8
	v_add_f32_e32 v3, v21, v28
	v_add_f32_e32 v5, v20, v24
	v_sub_f32_e32 v11, v24, v20
	v_sub_f32_e32 v21, v28, v21
	v_add_f32_e32 v20, v31, v32
	v_lshlrev_b32_e32 v24, 3, v2
	v_sub_f32_e32 v7, v10, v9
	v_add_f32_e32 v9, v9, v10
	v_sub_f32_e32 v8, v22, v23
	v_add_f32_e32 v10, v6, v30
	;; [unrolled: 2-line block ×3, first 2 shown]
	v_sub_f32_e32 v2, v32, v31
	ds_write2_b64 v24, v[0:1], v[20:21] offset1:8
	ds_write2_b64 v24, v[10:11], v[8:9] offset0:16 offset1:24
	ds_write2_b64 v24, v[6:7], v[4:5] offset0:32 offset1:40
	ds_write_b64 v24, v[2:3] offset:384
.LBB0_21:
	s_or_b32 exec_lo, exec_lo, s1
	s_waitcnt lgkmcnt(0)
	s_barrier
	buffer_gl0_inv
	ds_read2_b64 v[0:3], v37 offset1:56
	ds_read2_b64 v[4:7], v37 offset0:112 offset1:168
	ds_read_b64 v[8:9], v37 offset:1792
	s_waitcnt lgkmcnt(2)
	v_mul_f32_e32 v10, v17, v3
	v_mul_f32_e32 v11, v17, v2
	s_waitcnt lgkmcnt(1)
	v_mul_f32_e32 v17, v19, v5
	v_mul_f32_e32 v20, v13, v7
	;; [unrolled: 3-line block ×3, first 2 shown]
	v_mul_f32_e32 v13, v13, v6
	v_mul_f32_e32 v15, v15, v8
	v_fmac_f32_e32 v10, v16, v2
	v_fmac_f32_e32 v17, v18, v4
	;; [unrolled: 1-line block ×4, first 2 shown]
	v_fma_f32 v11, v16, v3, -v11
	v_fma_f32 v16, v18, v5, -v19
	;; [unrolled: 1-line block ×4, first 2 shown]
	v_add_f32_e32 v2, v17, v20
	v_add_f32_e32 v8, v10, v21
	;; [unrolled: 1-line block ×3, first 2 shown]
	v_sub_f32_e32 v5, v11, v9
	v_sub_f32_e32 v7, v16, v12
	;; [unrolled: 1-line block ×6, first 2 shown]
	v_fma_f32 v2, -0.5, v2, v0
	v_fma_f32 v0, -0.5, v8, v0
	v_add_f32_e32 v18, v16, v12
	v_add_f32_e32 v15, v1, v11
	;; [unrolled: 1-line block ×4, first 2 shown]
	v_fmamk_f32 v4, v5, 0xbf737871, v2
	v_fmac_f32_e32 v2, 0x3f737871, v5
	v_fmamk_f32 v6, v7, 0x3f737871, v0
	v_fmac_f32_e32 v0, 0xbf737871, v7
	v_add_f32_e32 v14, v11, v9
	v_sub_f32_e32 v10, v10, v21
	v_add_f32_e32 v19, v3, v17
	v_fma_f32 v3, -0.5, v18, v1
	v_fmac_f32_e32 v4, 0xbf167918, v7
	v_fmac_f32_e32 v2, 0x3f167918, v7
	;; [unrolled: 1-line block ×4, first 2 shown]
	v_add_f32_e32 v7, v15, v16
	v_sub_f32_e32 v15, v17, v20
	v_fma_f32 v1, -0.5, v14, v1
	v_fmamk_f32 v5, v10, 0x3f737871, v3
	v_sub_f32_e32 v14, v11, v16
	v_sub_f32_e32 v17, v9, v12
	v_fmac_f32_e32 v6, 0x3e9e377a, v13
	v_fmac_f32_e32 v0, 0x3e9e377a, v13
	v_add_f32_e32 v13, v7, v12
	v_fmamk_f32 v7, v15, 0xbf737871, v1
	v_sub_f32_e32 v11, v16, v11
	v_sub_f32_e32 v12, v12, v9
	v_fmac_f32_e32 v1, 0x3f737871, v15
	v_fmac_f32_e32 v3, 0xbf737871, v10
	v_add_f32_e32 v8, v19, v20
	v_fmac_f32_e32 v5, 0x3f167918, v15
	v_add_f32_e32 v14, v14, v17
	;; [unrolled: 2-line block ×3, first 2 shown]
	v_fmac_f32_e32 v1, 0xbf167918, v10
	v_fmac_f32_e32 v3, 0xbf167918, v15
	v_add_f32_e32 v8, v8, v21
	v_fmac_f32_e32 v4, 0x3e9e377a, v22
	v_add_f32_e32 v9, v13, v9
	v_fmac_f32_e32 v5, 0x3e9e377a, v14
	v_fmac_f32_e32 v7, 0x3e9e377a, v11
	;; [unrolled: 1-line block ×5, first 2 shown]
	ds_write2_b64 v37, v[8:9], v[4:5] offset1:56
	ds_write2_b64 v37, v[6:7], v[0:1] offset0:112 offset1:168
	ds_write_b64 v37, v[2:3] offset:1792
	s_waitcnt lgkmcnt(0)
	s_barrier
	buffer_gl0_inv
	s_and_b32 exec_lo, exec_lo, vcc_lo
	s_cbranch_execz .LBB0_23
; %bb.22:
	s_clause 0x7
	global_load_dwordx2 v[12:13], v37, s[14:15]
	global_load_dwordx2 v[14:15], v37, s[14:15] offset:280
	global_load_dwordx2 v[16:17], v37, s[14:15] offset:560
	;; [unrolled: 1-line block ×7, first 2 shown]
	v_mad_u64_u32 v[4:5], null, s6, v36, 0
	v_mad_u64_u32 v[28:29], null, s4, v38, 0
	ds_read_b64 v[30:31], v37
	s_mul_i32 s0, s5, 0x118
	s_mul_hi_u32 s1, s4, 0x118
	s_mul_i32 s2, s4, 0x118
	v_mov_b32_e32 v0, v5
	s_add_i32 s3, s1, s0
	v_mov_b32_e32 v1, v29
	s_mov_b32 s0, 0x1d41d41d
	s_mov_b32 s1, 0x3f6d41d4
	v_mad_u64_u32 v[2:3], null, s7, v36, v[0:1]
	v_mov_b32_e32 v5, v2
	v_mad_u64_u32 v[6:7], null, s5, v38, v[1:2]
	ds_read2_b64 v[0:3], v37 offset0:35 offset1:70
	v_lshlrev_b64 v[32:33], 3, v[4:5]
	v_mov_b32_e32 v29, v6
	ds_read2_b64 v[4:7], v37 offset0:105 offset1:140
	ds_read2_b64 v[8:11], v37 offset0:175 offset1:210
	v_add_co_u32 v34, vcc_lo, s12, v32
	v_add_co_ci_u32_e32 v35, vcc_lo, s13, v33, vcc_lo
	ds_read_b64 v[32:33], v37 offset:1960
	v_lshlrev_b64 v[28:29], 3, v[28:29]
	v_add_co_u32 v28, vcc_lo, v34, v28
	v_add_co_ci_u32_e32 v29, vcc_lo, v35, v29, vcc_lo
	v_add_co_u32 v34, vcc_lo, v28, s2
	v_add_co_ci_u32_e32 v35, vcc_lo, s3, v29, vcc_lo
	s_waitcnt vmcnt(7) lgkmcnt(4)
	v_mul_f32_e32 v36, v31, v13
	v_mul_f32_e32 v13, v30, v13
	s_waitcnt vmcnt(6) lgkmcnt(3)
	v_mul_f32_e32 v37, v1, v15
	v_mul_f32_e32 v15, v0, v15
	s_waitcnt vmcnt(5)
	v_mul_f32_e32 v38, v3, v17
	v_mul_f32_e32 v17, v2, v17
	s_waitcnt vmcnt(4) lgkmcnt(2)
	v_mul_f32_e32 v39, v5, v19
	v_mul_f32_e32 v19, v4, v19
	s_waitcnt vmcnt(3)
	v_mul_f32_e32 v40, v7, v21
	v_mul_f32_e32 v21, v6, v21
	s_waitcnt vmcnt(2) lgkmcnt(1)
	v_mul_f32_e32 v41, v9, v23
	v_mul_f32_e32 v23, v8, v23
	v_fmac_f32_e32 v36, v30, v12
	v_fma_f32 v12, v12, v31, -v13
	s_waitcnt vmcnt(1)
	v_mul_f32_e32 v42, v11, v25
	v_mul_f32_e32 v25, v10, v25
	v_fmac_f32_e32 v37, v0, v14
	v_fma_f32 v13, v14, v1, -v15
	s_waitcnt vmcnt(0) lgkmcnt(0)
	v_mul_f32_e32 v43, v33, v27
	v_mul_f32_e32 v27, v32, v27
	v_fmac_f32_e32 v38, v2, v16
	v_fma_f32 v14, v16, v3, -v17
	v_fmac_f32_e32 v39, v4, v18
	v_fma_f32 v15, v18, v5, -v19
	;; [unrolled: 2-line block ×4, first 2 shown]
	v_cvt_f64_f32_e32 v[0:1], v36
	v_cvt_f64_f32_e32 v[2:3], v12
	v_fmac_f32_e32 v42, v10, v24
	v_fma_f32 v30, v24, v11, -v25
	v_cvt_f64_f32_e32 v[4:5], v37
	v_cvt_f64_f32_e32 v[6:7], v13
	v_fmac_f32_e32 v43, v32, v26
	v_fma_f32 v32, v26, v33, -v27
	v_cvt_f64_f32_e32 v[8:9], v38
	v_cvt_f64_f32_e32 v[10:11], v14
	;; [unrolled: 1-line block ×12, first 2 shown]
	v_add_co_u32 v36, vcc_lo, v34, s2
	v_mul_f64 v[0:1], v[0:1], s[0:1]
	v_mul_f64 v[2:3], v[2:3], s[0:1]
	v_add_co_ci_u32_e32 v37, vcc_lo, s3, v35, vcc_lo
	v_mul_f64 v[4:5], v[4:5], s[0:1]
	v_mul_f64 v[6:7], v[6:7], s[0:1]
	v_add_co_u32 v38, vcc_lo, v36, s2
	v_mul_f64 v[8:9], v[8:9], s[0:1]
	v_mul_f64 v[10:11], v[10:11], s[0:1]
	;; [unrolled: 1-line block ×12, first 2 shown]
	v_add_co_ci_u32_e32 v39, vcc_lo, s3, v37, vcc_lo
	v_cvt_f32_f64_e32 v0, v[0:1]
	v_cvt_f32_f64_e32 v1, v[2:3]
	v_add_co_u32 v40, vcc_lo, v38, s2
	v_cvt_f32_f64_e32 v2, v[4:5]
	v_cvt_f32_f64_e32 v3, v[6:7]
	v_add_co_ci_u32_e32 v41, vcc_lo, s3, v39, vcc_lo
	v_cvt_f32_f64_e32 v4, v[8:9]
	v_cvt_f32_f64_e32 v5, v[10:11]
	;; [unrolled: 1-line block ×12, first 2 shown]
	v_add_co_u32 v16, vcc_lo, v40, s2
	v_add_co_ci_u32_e32 v17, vcc_lo, s3, v41, vcc_lo
	v_add_co_u32 v18, vcc_lo, v16, s2
	v_add_co_ci_u32_e32 v19, vcc_lo, s3, v17, vcc_lo
	v_add_co_u32 v20, vcc_lo, v18, s2
	v_add_co_ci_u32_e32 v21, vcc_lo, s3, v19, vcc_lo
	global_store_dwordx2 v[28:29], v[0:1], off
	global_store_dwordx2 v[34:35], v[2:3], off
	;; [unrolled: 1-line block ×8, first 2 shown]
.LBB0_23:
	s_endpgm
	.section	.rodata,"a",@progbits
	.p2align	6, 0x0
	.amdhsa_kernel bluestein_single_fwd_len280_dim1_sp_op_CI_CI
		.amdhsa_group_segment_fixed_size 2240
		.amdhsa_private_segment_fixed_size 0
		.amdhsa_kernarg_size 104
		.amdhsa_user_sgpr_count 6
		.amdhsa_user_sgpr_private_segment_buffer 1
		.amdhsa_user_sgpr_dispatch_ptr 0
		.amdhsa_user_sgpr_queue_ptr 0
		.amdhsa_user_sgpr_kernarg_segment_ptr 1
		.amdhsa_user_sgpr_dispatch_id 0
		.amdhsa_user_sgpr_flat_scratch_init 0
		.amdhsa_user_sgpr_private_segment_size 0
		.amdhsa_wavefront_size32 1
		.amdhsa_uses_dynamic_stack 0
		.amdhsa_system_sgpr_private_segment_wavefront_offset 0
		.amdhsa_system_sgpr_workgroup_id_x 1
		.amdhsa_system_sgpr_workgroup_id_y 0
		.amdhsa_system_sgpr_workgroup_id_z 0
		.amdhsa_system_sgpr_workgroup_info 0
		.amdhsa_system_vgpr_workitem_id 0
		.amdhsa_next_free_vgpr 77
		.amdhsa_next_free_sgpr 16
		.amdhsa_reserve_vcc 1
		.amdhsa_reserve_flat_scratch 0
		.amdhsa_float_round_mode_32 0
		.amdhsa_float_round_mode_16_64 0
		.amdhsa_float_denorm_mode_32 3
		.amdhsa_float_denorm_mode_16_64 3
		.amdhsa_dx10_clamp 1
		.amdhsa_ieee_mode 1
		.amdhsa_fp16_overflow 0
		.amdhsa_workgroup_processor_mode 1
		.amdhsa_memory_ordered 1
		.amdhsa_forward_progress 0
		.amdhsa_shared_vgpr_count 0
		.amdhsa_exception_fp_ieee_invalid_op 0
		.amdhsa_exception_fp_denorm_src 0
		.amdhsa_exception_fp_ieee_div_zero 0
		.amdhsa_exception_fp_ieee_overflow 0
		.amdhsa_exception_fp_ieee_underflow 0
		.amdhsa_exception_fp_ieee_inexact 0
		.amdhsa_exception_int_div_zero 0
	.end_amdhsa_kernel
	.text
.Lfunc_end0:
	.size	bluestein_single_fwd_len280_dim1_sp_op_CI_CI, .Lfunc_end0-bluestein_single_fwd_len280_dim1_sp_op_CI_CI
                                        ; -- End function
	.section	.AMDGPU.csdata,"",@progbits
; Kernel info:
; codeLenInByte = 5476
; NumSgprs: 18
; NumVgprs: 77
; ScratchSize: 0
; MemoryBound: 0
; FloatMode: 240
; IeeeMode: 1
; LDSByteSize: 2240 bytes/workgroup (compile time only)
; SGPRBlocks: 2
; VGPRBlocks: 9
; NumSGPRsForWavesPerEU: 18
; NumVGPRsForWavesPerEU: 77
; Occupancy: 12
; WaveLimiterHint : 1
; COMPUTE_PGM_RSRC2:SCRATCH_EN: 0
; COMPUTE_PGM_RSRC2:USER_SGPR: 6
; COMPUTE_PGM_RSRC2:TRAP_HANDLER: 0
; COMPUTE_PGM_RSRC2:TGID_X_EN: 1
; COMPUTE_PGM_RSRC2:TGID_Y_EN: 0
; COMPUTE_PGM_RSRC2:TGID_Z_EN: 0
; COMPUTE_PGM_RSRC2:TIDIG_COMP_CNT: 0
	.text
	.p2alignl 6, 3214868480
	.fill 48, 4, 3214868480
	.type	__hip_cuid_5e891d68c0250dab,@object ; @__hip_cuid_5e891d68c0250dab
	.section	.bss,"aw",@nobits
	.globl	__hip_cuid_5e891d68c0250dab
__hip_cuid_5e891d68c0250dab:
	.byte	0                               ; 0x0
	.size	__hip_cuid_5e891d68c0250dab, 1

	.ident	"AMD clang version 19.0.0git (https://github.com/RadeonOpenCompute/llvm-project roc-6.4.0 25133 c7fe45cf4b819c5991fe208aaa96edf142730f1d)"
	.section	".note.GNU-stack","",@progbits
	.addrsig
	.addrsig_sym __hip_cuid_5e891d68c0250dab
	.amdgpu_metadata
---
amdhsa.kernels:
  - .args:
      - .actual_access:  read_only
        .address_space:  global
        .offset:         0
        .size:           8
        .value_kind:     global_buffer
      - .actual_access:  read_only
        .address_space:  global
        .offset:         8
        .size:           8
        .value_kind:     global_buffer
      - .actual_access:  read_only
        .address_space:  global
        .offset:         16
        .size:           8
        .value_kind:     global_buffer
      - .actual_access:  read_only
        .address_space:  global
        .offset:         24
        .size:           8
        .value_kind:     global_buffer
      - .actual_access:  read_only
        .address_space:  global
        .offset:         32
        .size:           8
        .value_kind:     global_buffer
      - .offset:         40
        .size:           8
        .value_kind:     by_value
      - .address_space:  global
        .offset:         48
        .size:           8
        .value_kind:     global_buffer
      - .address_space:  global
        .offset:         56
        .size:           8
        .value_kind:     global_buffer
      - .address_space:  global
        .offset:         64
        .size:           8
        .value_kind:     global_buffer
      - .address_space:  global
        .offset:         72
        .size:           8
        .value_kind:     global_buffer
      - .offset:         80
        .size:           4
        .value_kind:     by_value
      - .address_space:  global
        .offset:         88
        .size:           8
        .value_kind:     global_buffer
      - .address_space:  global
        .offset:         96
        .size:           8
        .value_kind:     global_buffer
    .group_segment_fixed_size: 2240
    .kernarg_segment_align: 8
    .kernarg_segment_size: 104
    .language:       OpenCL C
    .language_version:
      - 2
      - 0
    .max_flat_workgroup_size: 56
    .name:           bluestein_single_fwd_len280_dim1_sp_op_CI_CI
    .private_segment_fixed_size: 0
    .sgpr_count:     18
    .sgpr_spill_count: 0
    .symbol:         bluestein_single_fwd_len280_dim1_sp_op_CI_CI.kd
    .uniform_work_group_size: 1
    .uses_dynamic_stack: false
    .vgpr_count:     77
    .vgpr_spill_count: 0
    .wavefront_size: 32
    .workgroup_processor_mode: 1
amdhsa.target:   amdgcn-amd-amdhsa--gfx1030
amdhsa.version:
  - 1
  - 2
...

	.end_amdgpu_metadata
